;; amdgpu-corpus repo=ROCm/aiter kind=harvested arch=n/a opt=n/a

/root/src/amdgpu-assembly/repos/ROCm__aiter/hsa/gfx950/topksoftmax/topksoftmax_4x256x8_bf16.co:	file format elf64-amdgpu

Disassembly of section .text:

0000000000001c00 <_ZN5aiter24topksoftmax_4x256x8_bf16E>:
	s_and_b32 s1, s1, 0xffff                                   // 000000001C00: 8601FF01 0000FFFF
	s_load_dwordx2 s[4:5], s[0:1], 0x0                         // 000000001C08: C0060100 00000000
	s_load_dwordx2 s[8:9], s[0:1], 0x10                        // 000000001C10: C0060200 00000010
	s_load_dwordx2 s[12:13], s[0:1], 0x20                      // 000000001C18: C0060300 00000020
	s_load_dword s16, s[0:1], 0x30                             // 000000001C20: C0020400 00000030
	s_load_dword s17, s[0:1], 0x40                             // 000000001C28: C0020440 00000040
	s_load_dword s18, s[0:1], 0x50                             // 000000001C30: C0020480 00000050
	s_load_dword s58, s[0:1], 0x60                             // 000000001C38: C0020E80 00000060
	s_load_dword s59, s[0:1], 0x70                             // 000000001C40: C0020EC0 00000070
	v_lshrrev_b32_e32 v1, 10, v0                               // 000000001C48: 2002008A
	v_lshrrev_b32_e32 v2, 10, v1                               // 000000001C4C: 2004028A
	v_and_b32_e32 v2, 0x3ff, v2                                // 000000001C50: 260404FF 000003FF
	v_and_b32_e32 v1, 0x3ff, v1                                // 000000001C58: 260202FF 000003FF
	v_and_b32_e32 v0, 0x3ff, v0                                // 000000001C60: 260000FF 000003FF
	v_lshrrev_b32_e32 v3, 6, v0                                // 000000001C68: 20060086
	v_and_b32_e32 v0, 63, v0                                   // 000000001C6C: 260000BF
	s_mov_b32 s19, s2                                          // 000000001C70: BE930002
	v_readfirstlane_b32 s56, v3                                // 000000001C74: 7E700503
	s_waitcnt lgkmcnt(0)                                       // 000000001C78: BF8CC07F
	s_mov_b32 s6, -16                                          // 000000001C7C: BE8600D0
	s_mov_b32 s10, -16                                         // 000000001C80: BE8A00D0
	s_mov_b32 s14, -16                                         // 000000001C84: BE8E00D0
	s_mov_b32 s7, 0x20000                                      // 000000001C88: BE8700FF 00020000
	s_mov_b32 s11, 0x20000                                     // 000000001C90: BE8B00FF 00020000
	s_mov_b32 s15, 0x20000                                     // 000000001C98: BE8F00FF 00020000
	s_and_b32 s5, s5, 0xffff                                   // 000000001CA0: 8605FF05 0000FFFF
	s_and_b32 s9, s9, 0xffff                                   // 000000001CA8: 8609FF09 0000FFFF
	s_and_b32 s13, s13, 0xffff                                 // 000000001CB0: 860DFF0D 0000FFFF
	s_or_b32 s5, s5, 0x40000                                   // 000000001CB8: 8705FF05 00040000
	s_or_b32 s9, s9, 0x40000                                   // 000000001CC0: 8709FF09 00040000
	s_or_b32 s13, s13, 0x40000                                 // 000000001CC8: 870DFF0D 00040000
	s_mul_i32 s20, s16, s17                                    // 000000001CD0: 92141110
	s_mul_i32 s20, s20, 2                                      // 000000001CD4: 92148214
	s_mov_b32 s14, s20                                         // 000000001CD8: BE8E0014
	v_lshlrev_b32_e32 v8, 1, v0                                // 000000001CDC: 24100081
	s_mul_i32 s20, s17, 2                                      // 000000001CE0: 92148211
	s_mul_i32 s21, s19, 4                                      // 000000001CE4: 92158413
	s_add_i32 s21, s21, s56                                    // 000000001CE8: 81153815
	s_mul_i32 s20, s20, s21                                    // 000000001CEC: 92141514
	v_add_u32_e32 v8, s20, v8                                  // 000000001CF0: 68101014
	buffer_load_short_d16 v11, v8, s[12:15], 0 offen           // 000000001CF4: E0901000 80030B08
	buffer_load_short_d16 v12, v8, s[12:15], 0 offen offset:128// 000000001CFC: E0901080 80030C08
	buffer_load_short_d16 v13, v8, s[12:15], 0 offen offset:256// 000000001D04: E0901100 80030D08
	buffer_load_short_d16 v14, v8, s[12:15], 0 offen offset:384// 000000001D0C: E0901180 80030E08
	v_mov_b32_e32 v17, 0                                       // 000000001D14: 7E220280
	v_mov_b32_e32 v18, 0                                       // 000000001D18: 7E240280
	v_mov_b32_e32 v19, 0                                       // 000000001D1C: 7E260280
	v_mov_b32_e32 v20, 0                                       // 000000001D20: 7E280280
	v_mov_b32_e32 v15, 0                                       // 000000001D24: 7E1E0280
	v_mov_b32_e32 v16, 0                                       // 000000001D28: 7E200280
	v_mov_b32_e32 v21, 0                                       // 000000001D2C: 7E2A0280
	s_mov_b32 s18, 8                                           // 000000001D30: BE920088
	v_lshlrev_b32_e32 v9, 2, v0                                // 000000001D34: 24120082
	s_mov_b32 s20, s59                                         // 000000001D38: BE94003B
	s_mul_i32 s21, s19, 4                                      // 000000001D3C: 92158413
	s_add_i32 s21, s21, s56                                    // 000000001D40: 81153815
	s_mul_i32 s20, s20, s21                                    // 000000001D44: 92141514
	v_add_u32_e32 v9, s20, v9                                  // 000000001D48: 68121214
	v_mov_b32_e32 v10, v9                                      // 000000001D4C: 7E140309
	s_mul_i32 s20, s16, s59                                    // 000000001D50: 92143B10
	s_mov_b32 s6, s20                                          // 000000001D54: BE860014
	s_mov_b32 s10, s20                                         // 000000001D58: BE8A0014
	s_mov_b32 s57, 0x3fb8aa3b                                  // 000000001D5C: BEB900FF 3FB8AA3B
	s_mov_b32 s40, 0                                           // 000000001D64: BEA80080
	s_mov_b32 s48, 1                                           // 000000001D68: BEB00081
	s_mov_b32 s41, 0                                           // 000000001D6C: BEA90080
	s_mov_b32 s49, 1                                           // 000000001D70: BEB10081
	s_mov_b32 s42, 0                                           // 000000001D74: BEAA0080
	s_mov_b32 s50, 1                                           // 000000001D78: BEB20081
	s_mov_b32 s43, 0                                           // 000000001D7C: BEAB0080
	s_mov_b32 s51, 1                                           // 000000001D80: BEB30081
	s_mov_b32 s44, 0                                           // 000000001D84: BEAC0080
	s_mov_b32 s52, 1                                           // 000000001D88: BEB40081
	s_mov_b32 s45, 0                                           // 000000001D8C: BEAD0080
	s_mov_b32 s53, 1                                           // 000000001D90: BEB50081
	s_mov_b32 s46, 0                                           // 000000001D94: BEAE0080
	s_mov_b32 s54, 1                                           // 000000001D98: BEB60081
	s_mov_b32 s47, 0                                           // 000000001D9C: BEAF0080
	s_mov_b32 s55, 1                                           // 000000001DA0: BEB70081
	s_waitcnt vmcnt(0) expcnt(0) lgkmcnt(0)                    // 000000001DA4: BF8C0000
	v_lshlrev_b32_e32 v11, 16, v11                             // 000000001DA8: 24161690
	v_lshlrev_b32_e32 v12, 16, v12                             // 000000001DAC: 24181890
	v_lshlrev_b32_e32 v13, 16, v13                             // 000000001DB0: 241A1A90
	v_lshlrev_b32_e32 v14, 16, v14                             // 000000001DB4: 241C1C90
	v_mul_f32_e64 v11, v11, s57                                // 000000001DB8: D105000B 0000730B
	v_exp_f32_e32 v11, v11                                     // 000000001DC0: 7E16410B
	v_mul_f32_e64 v12, v12, s57                                // 000000001DC4: D105000C 0000730C
	v_exp_f32_e32 v12, v12                                     // 000000001DCC: 7E18410C
	v_mul_f32_e64 v13, v13, s57                                // 000000001DD0: D105000D 0000730D
	v_exp_f32_e32 v13, v13                                     // 000000001DD8: 7E1A410D
	v_mul_f32_e64 v14, v14, s57                                // 000000001DDC: D105000E 0000730E
	v_exp_f32_e32 v14, v14                                     // 000000001DE4: 7E1C410E
	s_nop 0                                                    // 000000001DE8: BF800000
	v_add_f32_e32 v17, v17, v11                                // 000000001DEC: 02221711
	v_add_f32_e32 v17, v17, v12                                // 000000001DF0: 02221911
	v_add_f32_e32 v17, v17, v13                                // 000000001DF4: 02221B11
	v_add_f32_e32 v17, v17, v14                                // 000000001DF8: 02221D11
	s_nop 1                                                    // 000000001DFC: BF800001
	v_add_f32_dpp v4, v17, v17 quad_perm:[1,0,3,2] row_mask:0xf bank_mask:0xf// 000000001E00: 020822FA FF00B111
	s_nop 1                                                    // 000000001E08: BF800001
	v_add_f32_dpp v4, v4, v4 quad_perm:[2,3,0,1] row_mask:0xf bank_mask:0xf// 000000001E0C: 020808FA FF004E04
	s_nop 1                                                    // 000000001E14: BF800001
	v_add_f32_dpp v4, v4, v4 row_shr:4 row_mask:0xf bank_mask:0xf// 000000001E18: 020808FA FF011404
	s_nop 1                                                    // 000000001E20: BF800001
	v_add_f32_dpp v4, v4, v4 row_shr:8 row_mask:0xf bank_mask:0xf// 000000001E24: 020808FA FF011804
	s_nop 1                                                    // 000000001E2C: BF800001
	v_add_f32_dpp v4, v4, v4 row_bcast:15 row_mask:0xf bank_mask:0xf// 000000001E30: 020808FA FF014204
	s_nop 1                                                    // 000000001E38: BF800001
	v_add_f32_dpp v4, v4, v4 row_bcast:31 row_mask:0xf bank_mask:0xf// 000000001E3C: 020808FA FF014304
	s_nop 0                                                    // 000000001E44: BF800000
	v_readlane_b32 s20, v4, 63                                 // 000000001E48: D2890014 00017F04
	v_mov_b32_e32 v18, s20                                     // 000000001E50: 7E240214
	v_rcp_f32_e32 v17, v18                                     // 000000001E54: 7E224512
	s_nop 0                                                    // 000000001E58: BF800000
	v_mul_f32_e32 v11, v11, v17                                // 000000001E5C: 0A16230B
	v_mul_f32_e32 v12, v12, v17                                // 000000001E60: 0A18230C
	v_mul_f32_e32 v13, v13, v17                                // 000000001E64: 0A1A230D
	v_mul_f32_e32 v14, v14, v17                                // 000000001E68: 0A1C230E
	s_cmp_eq_u32 s58, 0                                        // 000000001E6C: BF06803A
	s_cbranch_scc0 label_02CB                                  // 000000001E70: BF84022E
	v_max_f32_e32 v19, v11, v12                                // 000000001E74: 1626190B
	v_max3_f32 v19, v19, v13, v14                              // 000000001E78: D1D30013 043A1B13
	s_nop 1                                                    // 000000001E80: BF800001
	v_max_f32_dpp v4, v19, v19 quad_perm:[1,0,3,2] row_mask:0xf bank_mask:0xf// 000000001E84: 160826FA FF00B113
	s_nop 1                                                    // 000000001E8C: BF800001
	v_max_f32_dpp v4, v4, v4 quad_perm:[2,3,0,1] row_mask:0xf bank_mask:0xf// 000000001E90: 160808FA FF004E04
	s_nop 1                                                    // 000000001E98: BF800001
	v_max_f32_dpp v4, v4, v4 row_shr:4 row_mask:0xf bank_mask:0xf// 000000001E9C: 160808FA FF011404
	s_nop 1                                                    // 000000001EA4: BF800001
	v_max_f32_dpp v4, v4, v4 row_shr:8 row_mask:0xf bank_mask:0xf// 000000001EA8: 160808FA FF011804
	s_nop 1                                                    // 000000001EB0: BF800001
	v_max_f32_dpp v4, v4, v4 row_bcast:15 row_mask:0xf bank_mask:0xf// 000000001EB4: 160808FA FF014204
	s_nop 1                                                    // 000000001EBC: BF800001
	v_max_f32_dpp v4, v4, v4 row_bcast:31 row_mask:0xf bank_mask:0xf// 000000001EC0: 160808FA FF014304
	s_nop 0                                                    // 000000001EC8: BF800000
	v_readlane_b32 s20, v4, 63                                 // 000000001ECC: D2890014 00017F04
	v_mov_b32_e32 v19, s20                                     // 000000001ED4: 7E260214
	v_cmp_eq_f32_e64 s[24:25], v19, v11                        // 000000001ED8: D0420018 00021713
	v_cmp_eq_f32_e64 s[26:27], v19, v12                        // 000000001EE0: D042001A 00021913
	v_cmp_eq_f32_e64 s[28:29], v19, v13                        // 000000001EE8: D042001C 00021B13
	v_cmp_eq_f32_e64 s[30:31], v19, v14                        // 000000001EF0: D042001E 00021D13
	s_ff1_i32_b64 s32, s[24:25]                                // 000000001EF8: BEA01118
	s_ff1_i32_b64 s33, s[26:27]                                // 000000001EFC: BEA1111A
	s_ff1_i32_b64 s34, s[28:29]                                // 000000001F00: BEA2111C
	s_ff1_i32_b64 s35, s[30:31]                                // 000000001F04: BEA3111E
	v_readlane_b32 s20, v19, 0                                 // 000000001F08: D2890014 00010113
	v_writelane_b32 v16, s20, 0                                // 000000001F10: D28A0010 00010014
	s_mov_b32 s22, s32                                         // 000000001F18: BE960020
	s_cmp_eq_u32 s32, -1                                       // 000000001F1C: BF06C120
	s_cselect_b32 s21, 1, 0                                    // 000000001F20: 85158081
	s_cbranch_scc0 label_00DA                                  // 000000001F24: BF840010
	s_add_u32 s40, s21, s40                                    // 000000001F28: 80282815
	s_mov_b32 s22, s33                                         // 000000001F2C: BE960021
	s_cmp_eq_u32 s33, -1                                       // 000000001F30: BF06C121
	s_cselect_b32 s21, 1, 0                                    // 000000001F34: 85158081
	s_cbranch_scc0 label_00DA                                  // 000000001F38: BF84000B
	s_add_u32 s40, s21, s40                                    // 000000001F3C: 80282815
	s_mov_b32 s22, s34                                         // 000000001F40: BE960022
	s_cmp_eq_u32 s34, -1                                       // 000000001F44: BF06C122
	s_cselect_b32 s21, 1, 0                                    // 000000001F48: 85158081
	s_cbranch_scc0 label_00DA                                  // 000000001F4C: BF840006
	s_add_u32 s40, s21, s40                                    // 000000001F50: 80282815
	s_mov_b32 s22, s35                                         // 000000001F54: BE960023
	s_cmp_eq_u32 s35, -1                                       // 000000001F58: BF06C123
	s_cselect_b32 s21, 1, 0                                    // 000000001F5C: 85158081
	s_cbranch_scc0 label_00DA                                  // 000000001F60: BF840001
	s_add_u32 s40, s21, s40                                    // 000000001F64: 80282815

0000000000001f68 <label_00DA>:
	s_set_gpr_idx_on s40, gpr_idx(DST)                         // 000000001F68: BF110828
	v_writelane_b32 v11, 0, s22                                // 000000001F6C: D28A000B 00002C80
	s_set_gpr_idx_off                                          // 000000001F74: BF9C0000
	s_mul_i32 s40, 64, s40                                     // 000000001F78: 922828C0
	s_add_u32 s40, s22, s40                                    // 000000001F7C: 80282816
	v_writelane_b32 v15, s40, 0                                // 000000001F80: D28A000F 00010028
	v_max_f32_e32 v19, v11, v12                                // 000000001F88: 1626190B
	v_max3_f32 v19, v19, v13, v14                              // 000000001F8C: D1D30013 043A1B13
	s_nop 1                                                    // 000000001F94: BF800001
	v_max_f32_dpp v4, v19, v19 quad_perm:[1,0,3,2] row_mask:0xf bank_mask:0xf// 000000001F98: 160826FA FF00B113
	s_nop 1                                                    // 000000001FA0: BF800001
	v_max_f32_dpp v4, v4, v4 quad_perm:[2,3,0,1] row_mask:0xf bank_mask:0xf// 000000001FA4: 160808FA FF004E04
	s_nop 1                                                    // 000000001FAC: BF800001
	v_max_f32_dpp v4, v4, v4 row_shr:4 row_mask:0xf bank_mask:0xf// 000000001FB0: 160808FA FF011404
	s_nop 1                                                    // 000000001FB8: BF800001
	v_max_f32_dpp v4, v4, v4 row_shr:8 row_mask:0xf bank_mask:0xf// 000000001FBC: 160808FA FF011804
	s_nop 1                                                    // 000000001FC4: BF800001
	v_max_f32_dpp v4, v4, v4 row_bcast:15 row_mask:0xf bank_mask:0xf// 000000001FC8: 160808FA FF014204
	s_nop 1                                                    // 000000001FD0: BF800001
	v_max_f32_dpp v4, v4, v4 row_bcast:31 row_mask:0xf bank_mask:0xf// 000000001FD4: 160808FA FF014304
	s_nop 0                                                    // 000000001FDC: BF800000
	v_readlane_b32 s20, v4, 63                                 // 000000001FE0: D2890014 00017F04
	v_mov_b32_e32 v19, s20                                     // 000000001FE8: 7E260214
	v_cmp_eq_f32_e64 s[24:25], v19, v11                        // 000000001FEC: D0420018 00021713
	v_cmp_eq_f32_e64 s[26:27], v19, v12                        // 000000001FF4: D042001A 00021913
	v_cmp_eq_f32_e64 s[28:29], v19, v13                        // 000000001FFC: D042001C 00021B13
	v_cmp_eq_f32_e64 s[30:31], v19, v14                        // 000000002004: D042001E 00021D13
	s_ff1_i32_b64 s32, s[24:25]                                // 00000000200C: BEA01118
	s_ff1_i32_b64 s33, s[26:27]                                // 000000002010: BEA1111A
	s_ff1_i32_b64 s34, s[28:29]                                // 000000002014: BEA2111C
	s_ff1_i32_b64 s35, s[30:31]                                // 000000002018: BEA3111E
	v_readlane_b32 s20, v19, 0                                 // 00000000201C: D2890014 00010113
	v_writelane_b32 v16, s20, 1                                // 000000002024: D28A0010 00010214
	s_mov_b32 s22, s32                                         // 00000000202C: BE960020
	s_cmp_eq_u32 s32, -1                                       // 000000002030: BF06C120
	s_cselect_b32 s21, 1, 0                                    // 000000002034: 85158081
	s_cbranch_scc0 label_011F                                  // 000000002038: BF840010
	s_add_u32 s41, s21, s41                                    // 00000000203C: 80292915
	s_mov_b32 s22, s33                                         // 000000002040: BE960021
	s_cmp_eq_u32 s33, -1                                       // 000000002044: BF06C121
	s_cselect_b32 s21, 1, 0                                    // 000000002048: 85158081
	s_cbranch_scc0 label_011F                                  // 00000000204C: BF84000B
	s_add_u32 s41, s21, s41                                    // 000000002050: 80292915
	s_mov_b32 s22, s34                                         // 000000002054: BE960022
	s_cmp_eq_u32 s34, -1                                       // 000000002058: BF06C122
	s_cselect_b32 s21, 1, 0                                    // 00000000205C: 85158081
	s_cbranch_scc0 label_011F                                  // 000000002060: BF840006
	s_add_u32 s41, s21, s41                                    // 000000002064: 80292915
	s_mov_b32 s22, s35                                         // 000000002068: BE960023
	s_cmp_eq_u32 s35, -1                                       // 00000000206C: BF06C123
	s_cselect_b32 s21, 1, 0                                    // 000000002070: 85158081
	s_cbranch_scc0 label_011F                                  // 000000002074: BF840001
	s_add_u32 s41, s21, s41                                    // 000000002078: 80292915

000000000000207c <label_011F>:
	s_set_gpr_idx_on s41, gpr_idx(DST)                         // 00000000207C: BF110829
	v_writelane_b32 v11, 0, s22                                // 000000002080: D28A000B 00002C80
	s_set_gpr_idx_off                                          // 000000002088: BF9C0000
	s_mul_i32 s41, 64, s41                                     // 00000000208C: 922929C0
	s_add_u32 s41, s22, s41                                    // 000000002090: 80292916
	v_writelane_b32 v15, s41, 1                                // 000000002094: D28A000F 00010229
	v_max_f32_e32 v19, v11, v12                                // 00000000209C: 1626190B
	v_max3_f32 v19, v19, v13, v14                              // 0000000020A0: D1D30013 043A1B13
	s_nop 1                                                    // 0000000020A8: BF800001
	v_max_f32_dpp v4, v19, v19 quad_perm:[1,0,3,2] row_mask:0xf bank_mask:0xf// 0000000020AC: 160826FA FF00B113
	s_nop 1                                                    // 0000000020B4: BF800001
	v_max_f32_dpp v4, v4, v4 quad_perm:[2,3,0,1] row_mask:0xf bank_mask:0xf// 0000000020B8: 160808FA FF004E04
	s_nop 1                                                    // 0000000020C0: BF800001
	v_max_f32_dpp v4, v4, v4 row_shr:4 row_mask:0xf bank_mask:0xf// 0000000020C4: 160808FA FF011404
	s_nop 1                                                    // 0000000020CC: BF800001
	v_max_f32_dpp v4, v4, v4 row_shr:8 row_mask:0xf bank_mask:0xf// 0000000020D0: 160808FA FF011804
	s_nop 1                                                    // 0000000020D8: BF800001
	v_max_f32_dpp v4, v4, v4 row_bcast:15 row_mask:0xf bank_mask:0xf// 0000000020DC: 160808FA FF014204
	s_nop 1                                                    // 0000000020E4: BF800001
	v_max_f32_dpp v4, v4, v4 row_bcast:31 row_mask:0xf bank_mask:0xf// 0000000020E8: 160808FA FF014304
	s_nop 0                                                    // 0000000020F0: BF800000
	v_readlane_b32 s20, v4, 63                                 // 0000000020F4: D2890014 00017F04
	v_mov_b32_e32 v19, s20                                     // 0000000020FC: 7E260214
	v_cmp_eq_f32_e64 s[24:25], v19, v11                        // 000000002100: D0420018 00021713
	v_cmp_eq_f32_e64 s[26:27], v19, v12                        // 000000002108: D042001A 00021913
	v_cmp_eq_f32_e64 s[28:29], v19, v13                        // 000000002110: D042001C 00021B13
	v_cmp_eq_f32_e64 s[30:31], v19, v14                        // 000000002118: D042001E 00021D13
	s_ff1_i32_b64 s32, s[24:25]                                // 000000002120: BEA01118
	s_ff1_i32_b64 s33, s[26:27]                                // 000000002124: BEA1111A
	s_ff1_i32_b64 s34, s[28:29]                                // 000000002128: BEA2111C
	s_ff1_i32_b64 s35, s[30:31]                                // 00000000212C: BEA3111E
	v_readlane_b32 s20, v19, 0                                 // 000000002130: D2890014 00010113
	v_writelane_b32 v16, s20, 2                                // 000000002138: D28A0010 00010414
	s_mov_b32 s22, s32                                         // 000000002140: BE960020
	s_cmp_eq_u32 s32, -1                                       // 000000002144: BF06C120
	s_cselect_b32 s21, 1, 0                                    // 000000002148: 85158081
	s_cbranch_scc0 label_0164                                  // 00000000214C: BF840010
	s_add_u32 s42, s21, s42                                    // 000000002150: 802A2A15
	s_mov_b32 s22, s33                                         // 000000002154: BE960021
	s_cmp_eq_u32 s33, -1                                       // 000000002158: BF06C121
	s_cselect_b32 s21, 1, 0                                    // 00000000215C: 85158081
	s_cbranch_scc0 label_0164                                  // 000000002160: BF84000B
	s_add_u32 s42, s21, s42                                    // 000000002164: 802A2A15
	s_mov_b32 s22, s34                                         // 000000002168: BE960022
	s_cmp_eq_u32 s34, -1                                       // 00000000216C: BF06C122
	s_cselect_b32 s21, 1, 0                                    // 000000002170: 85158081
	s_cbranch_scc0 label_0164                                  // 000000002174: BF840006
	s_add_u32 s42, s21, s42                                    // 000000002178: 802A2A15
	s_mov_b32 s22, s35                                         // 00000000217C: BE960023
	s_cmp_eq_u32 s35, -1                                       // 000000002180: BF06C123
	s_cselect_b32 s21, 1, 0                                    // 000000002184: 85158081
	s_cbranch_scc0 label_0164                                  // 000000002188: BF840001
	s_add_u32 s42, s21, s42                                    // 00000000218C: 802A2A15

0000000000002190 <label_0164>:
	s_set_gpr_idx_on s42, gpr_idx(DST)                         // 000000002190: BF11082A
	v_writelane_b32 v11, 0, s22                                // 000000002194: D28A000B 00002C80
	s_set_gpr_idx_off                                          // 00000000219C: BF9C0000
	s_mul_i32 s42, 64, s42                                     // 0000000021A0: 922A2AC0
	s_add_u32 s42, s22, s42                                    // 0000000021A4: 802A2A16
	v_writelane_b32 v15, s42, 2                                // 0000000021A8: D28A000F 0001042A
	v_max_f32_e32 v19, v11, v12                                // 0000000021B0: 1626190B
	v_max3_f32 v19, v19, v13, v14                              // 0000000021B4: D1D30013 043A1B13
	s_nop 1                                                    // 0000000021BC: BF800001
	v_max_f32_dpp v4, v19, v19 quad_perm:[1,0,3,2] row_mask:0xf bank_mask:0xf// 0000000021C0: 160826FA FF00B113
	s_nop 1                                                    // 0000000021C8: BF800001
	v_max_f32_dpp v4, v4, v4 quad_perm:[2,3,0,1] row_mask:0xf bank_mask:0xf// 0000000021CC: 160808FA FF004E04
	s_nop 1                                                    // 0000000021D4: BF800001
	v_max_f32_dpp v4, v4, v4 row_shr:4 row_mask:0xf bank_mask:0xf// 0000000021D8: 160808FA FF011404
	s_nop 1                                                    // 0000000021E0: BF800001
	v_max_f32_dpp v4, v4, v4 row_shr:8 row_mask:0xf bank_mask:0xf// 0000000021E4: 160808FA FF011804
	s_nop 1                                                    // 0000000021EC: BF800001
	v_max_f32_dpp v4, v4, v4 row_bcast:15 row_mask:0xf bank_mask:0xf// 0000000021F0: 160808FA FF014204
	s_nop 1                                                    // 0000000021F8: BF800001
	v_max_f32_dpp v4, v4, v4 row_bcast:31 row_mask:0xf bank_mask:0xf// 0000000021FC: 160808FA FF014304
	s_nop 0                                                    // 000000002204: BF800000
	v_readlane_b32 s20, v4, 63                                 // 000000002208: D2890014 00017F04
	v_mov_b32_e32 v19, s20                                     // 000000002210: 7E260214
	v_cmp_eq_f32_e64 s[24:25], v19, v11                        // 000000002214: D0420018 00021713
	v_cmp_eq_f32_e64 s[26:27], v19, v12                        // 00000000221C: D042001A 00021913
	v_cmp_eq_f32_e64 s[28:29], v19, v13                        // 000000002224: D042001C 00021B13
	v_cmp_eq_f32_e64 s[30:31], v19, v14                        // 00000000222C: D042001E 00021D13
	s_ff1_i32_b64 s32, s[24:25]                                // 000000002234: BEA01118
	s_ff1_i32_b64 s33, s[26:27]                                // 000000002238: BEA1111A
	s_ff1_i32_b64 s34, s[28:29]                                // 00000000223C: BEA2111C
	s_ff1_i32_b64 s35, s[30:31]                                // 000000002240: BEA3111E
	v_readlane_b32 s20, v19, 0                                 // 000000002244: D2890014 00010113
	v_writelane_b32 v16, s20, 3                                // 00000000224C: D28A0010 00010614
	s_mov_b32 s22, s32                                         // 000000002254: BE960020
	s_cmp_eq_u32 s32, -1                                       // 000000002258: BF06C120
	s_cselect_b32 s21, 1, 0                                    // 00000000225C: 85158081
	s_cbranch_scc0 label_01A9                                  // 000000002260: BF840010
	s_add_u32 s43, s21, s43                                    // 000000002264: 802B2B15
	s_mov_b32 s22, s33                                         // 000000002268: BE960021
	s_cmp_eq_u32 s33, -1                                       // 00000000226C: BF06C121
	s_cselect_b32 s21, 1, 0                                    // 000000002270: 85158081
	s_cbranch_scc0 label_01A9                                  // 000000002274: BF84000B
	s_add_u32 s43, s21, s43                                    // 000000002278: 802B2B15
	s_mov_b32 s22, s34                                         // 00000000227C: BE960022
	s_cmp_eq_u32 s34, -1                                       // 000000002280: BF06C122
	s_cselect_b32 s21, 1, 0                                    // 000000002284: 85158081
	s_cbranch_scc0 label_01A9                                  // 000000002288: BF840006
	s_add_u32 s43, s21, s43                                    // 00000000228C: 802B2B15
	s_mov_b32 s22, s35                                         // 000000002290: BE960023
	s_cmp_eq_u32 s35, -1                                       // 000000002294: BF06C123
	s_cselect_b32 s21, 1, 0                                    // 000000002298: 85158081
	s_cbranch_scc0 label_01A9                                  // 00000000229C: BF840001
	s_add_u32 s43, s21, s43                                    // 0000000022A0: 802B2B15

00000000000022a4 <label_01A9>:
	s_set_gpr_idx_on s43, gpr_idx(DST)                         // 0000000022A4: BF11082B
	v_writelane_b32 v11, 0, s22                                // 0000000022A8: D28A000B 00002C80
	s_set_gpr_idx_off                                          // 0000000022B0: BF9C0000
	s_mul_i32 s43, 64, s43                                     // 0000000022B4: 922B2BC0
	s_add_u32 s43, s22, s43                                    // 0000000022B8: 802B2B16
	v_writelane_b32 v15, s43, 3                                // 0000000022BC: D28A000F 0001062B
	v_max_f32_e32 v19, v11, v12                                // 0000000022C4: 1626190B
	v_max3_f32 v19, v19, v13, v14                              // 0000000022C8: D1D30013 043A1B13
	s_nop 1                                                    // 0000000022D0: BF800001
	v_max_f32_dpp v4, v19, v19 quad_perm:[1,0,3,2] row_mask:0xf bank_mask:0xf// 0000000022D4: 160826FA FF00B113
	s_nop 1                                                    // 0000000022DC: BF800001
	v_max_f32_dpp v4, v4, v4 quad_perm:[2,3,0,1] row_mask:0xf bank_mask:0xf// 0000000022E0: 160808FA FF004E04
	s_nop 1                                                    // 0000000022E8: BF800001
	v_max_f32_dpp v4, v4, v4 row_shr:4 row_mask:0xf bank_mask:0xf// 0000000022EC: 160808FA FF011404
	s_nop 1                                                    // 0000000022F4: BF800001
	v_max_f32_dpp v4, v4, v4 row_shr:8 row_mask:0xf bank_mask:0xf// 0000000022F8: 160808FA FF011804
	s_nop 1                                                    // 000000002300: BF800001
	v_max_f32_dpp v4, v4, v4 row_bcast:15 row_mask:0xf bank_mask:0xf// 000000002304: 160808FA FF014204
	s_nop 1                                                    // 00000000230C: BF800001
	v_max_f32_dpp v4, v4, v4 row_bcast:31 row_mask:0xf bank_mask:0xf// 000000002310: 160808FA FF014304
	s_nop 0                                                    // 000000002318: BF800000
	v_readlane_b32 s20, v4, 63                                 // 00000000231C: D2890014 00017F04
	v_mov_b32_e32 v19, s20                                     // 000000002324: 7E260214
	v_cmp_eq_f32_e64 s[24:25], v19, v11                        // 000000002328: D0420018 00021713
	v_cmp_eq_f32_e64 s[26:27], v19, v12                        // 000000002330: D042001A 00021913
	v_cmp_eq_f32_e64 s[28:29], v19, v13                        // 000000002338: D042001C 00021B13
	v_cmp_eq_f32_e64 s[30:31], v19, v14                        // 000000002340: D042001E 00021D13
	s_ff1_i32_b64 s32, s[24:25]                                // 000000002348: BEA01118
	s_ff1_i32_b64 s33, s[26:27]                                // 00000000234C: BEA1111A
	s_ff1_i32_b64 s34, s[28:29]                                // 000000002350: BEA2111C
	s_ff1_i32_b64 s35, s[30:31]                                // 000000002354: BEA3111E
	v_readlane_b32 s20, v19, 0                                 // 000000002358: D2890014 00010113
	v_writelane_b32 v16, s20, 4                                // 000000002360: D28A0010 00010814
	s_mov_b32 s22, s32                                         // 000000002368: BE960020
	s_cmp_eq_u32 s32, -1                                       // 00000000236C: BF06C120
	s_cselect_b32 s21, 1, 0                                    // 000000002370: 85158081
	s_cbranch_scc0 label_01EE                                  // 000000002374: BF840010
	s_add_u32 s44, s21, s44                                    // 000000002378: 802C2C15
	s_mov_b32 s22, s33                                         // 00000000237C: BE960021
	s_cmp_eq_u32 s33, -1                                       // 000000002380: BF06C121
	s_cselect_b32 s21, 1, 0                                    // 000000002384: 85158081
	s_cbranch_scc0 label_01EE                                  // 000000002388: BF84000B
	s_add_u32 s44, s21, s44                                    // 00000000238C: 802C2C15
	s_mov_b32 s22, s34                                         // 000000002390: BE960022
	s_cmp_eq_u32 s34, -1                                       // 000000002394: BF06C122
	s_cselect_b32 s21, 1, 0                                    // 000000002398: 85158081
	s_cbranch_scc0 label_01EE                                  // 00000000239C: BF840006
	s_add_u32 s44, s21, s44                                    // 0000000023A0: 802C2C15
	s_mov_b32 s22, s35                                         // 0000000023A4: BE960023
	s_cmp_eq_u32 s35, -1                                       // 0000000023A8: BF06C123
	s_cselect_b32 s21, 1, 0                                    // 0000000023AC: 85158081
	s_cbranch_scc0 label_01EE                                  // 0000000023B0: BF840001
	s_add_u32 s44, s21, s44                                    // 0000000023B4: 802C2C15

00000000000023b8 <label_01EE>:
	s_set_gpr_idx_on s44, gpr_idx(DST)                         // 0000000023B8: BF11082C
	v_writelane_b32 v11, 0, s22                                // 0000000023BC: D28A000B 00002C80
	s_set_gpr_idx_off                                          // 0000000023C4: BF9C0000
	s_mul_i32 s44, 64, s44                                     // 0000000023C8: 922C2CC0
	s_add_u32 s44, s22, s44                                    // 0000000023CC: 802C2C16
	v_writelane_b32 v15, s44, 4                                // 0000000023D0: D28A000F 0001082C
	v_max_f32_e32 v19, v11, v12                                // 0000000023D8: 1626190B
	v_max3_f32 v19, v19, v13, v14                              // 0000000023DC: D1D30013 043A1B13
	s_nop 1                                                    // 0000000023E4: BF800001
	v_max_f32_dpp v4, v19, v19 quad_perm:[1,0,3,2] row_mask:0xf bank_mask:0xf// 0000000023E8: 160826FA FF00B113
	s_nop 1                                                    // 0000000023F0: BF800001
	v_max_f32_dpp v4, v4, v4 quad_perm:[2,3,0,1] row_mask:0xf bank_mask:0xf// 0000000023F4: 160808FA FF004E04
	s_nop 1                                                    // 0000000023FC: BF800001
	v_max_f32_dpp v4, v4, v4 row_shr:4 row_mask:0xf bank_mask:0xf// 000000002400: 160808FA FF011404
	s_nop 1                                                    // 000000002408: BF800001
	v_max_f32_dpp v4, v4, v4 row_shr:8 row_mask:0xf bank_mask:0xf// 00000000240C: 160808FA FF011804
	s_nop 1                                                    // 000000002414: BF800001
	v_max_f32_dpp v4, v4, v4 row_bcast:15 row_mask:0xf bank_mask:0xf// 000000002418: 160808FA FF014204
	s_nop 1                                                    // 000000002420: BF800001
	v_max_f32_dpp v4, v4, v4 row_bcast:31 row_mask:0xf bank_mask:0xf// 000000002424: 160808FA FF014304
	s_nop 0                                                    // 00000000242C: BF800000
	v_readlane_b32 s20, v4, 63                                 // 000000002430: D2890014 00017F04
	v_mov_b32_e32 v19, s20                                     // 000000002438: 7E260214
	v_cmp_eq_f32_e64 s[24:25], v19, v11                        // 00000000243C: D0420018 00021713
	v_cmp_eq_f32_e64 s[26:27], v19, v12                        // 000000002444: D042001A 00021913
	v_cmp_eq_f32_e64 s[28:29], v19, v13                        // 00000000244C: D042001C 00021B13
	v_cmp_eq_f32_e64 s[30:31], v19, v14                        // 000000002454: D042001E 00021D13
	s_ff1_i32_b64 s32, s[24:25]                                // 00000000245C: BEA01118
	s_ff1_i32_b64 s33, s[26:27]                                // 000000002460: BEA1111A
	s_ff1_i32_b64 s34, s[28:29]                                // 000000002464: BEA2111C
	s_ff1_i32_b64 s35, s[30:31]                                // 000000002468: BEA3111E
	v_readlane_b32 s20, v19, 0                                 // 00000000246C: D2890014 00010113
	v_writelane_b32 v16, s20, 5                                // 000000002474: D28A0010 00010A14
	s_mov_b32 s22, s32                                         // 00000000247C: BE960020
	s_cmp_eq_u32 s32, -1                                       // 000000002480: BF06C120
	s_cselect_b32 s21, 1, 0                                    // 000000002484: 85158081
	s_cbranch_scc0 label_0233                                  // 000000002488: BF840010
	s_add_u32 s45, s21, s45                                    // 00000000248C: 802D2D15
	s_mov_b32 s22, s33                                         // 000000002490: BE960021
	s_cmp_eq_u32 s33, -1                                       // 000000002494: BF06C121
	s_cselect_b32 s21, 1, 0                                    // 000000002498: 85158081
	s_cbranch_scc0 label_0233                                  // 00000000249C: BF84000B
	s_add_u32 s45, s21, s45                                    // 0000000024A0: 802D2D15
	s_mov_b32 s22, s34                                         // 0000000024A4: BE960022
	s_cmp_eq_u32 s34, -1                                       // 0000000024A8: BF06C122
	s_cselect_b32 s21, 1, 0                                    // 0000000024AC: 85158081
	s_cbranch_scc0 label_0233                                  // 0000000024B0: BF840006
	s_add_u32 s45, s21, s45                                    // 0000000024B4: 802D2D15
	s_mov_b32 s22, s35                                         // 0000000024B8: BE960023
	s_cmp_eq_u32 s35, -1                                       // 0000000024BC: BF06C123
	s_cselect_b32 s21, 1, 0                                    // 0000000024C0: 85158081
	s_cbranch_scc0 label_0233                                  // 0000000024C4: BF840001
	s_add_u32 s45, s21, s45                                    // 0000000024C8: 802D2D15

00000000000024cc <label_0233>:
	s_set_gpr_idx_on s45, gpr_idx(DST)                         // 0000000024CC: BF11082D
	v_writelane_b32 v11, 0, s22                                // 0000000024D0: D28A000B 00002C80
	s_set_gpr_idx_off                                          // 0000000024D8: BF9C0000
	s_mul_i32 s45, 64, s45                                     // 0000000024DC: 922D2DC0
	s_add_u32 s45, s22, s45                                    // 0000000024E0: 802D2D16
	v_writelane_b32 v15, s45, 5                                // 0000000024E4: D28A000F 00010A2D
	v_max_f32_e32 v19, v11, v12                                // 0000000024EC: 1626190B
	v_max3_f32 v19, v19, v13, v14                              // 0000000024F0: D1D30013 043A1B13
	s_nop 1                                                    // 0000000024F8: BF800001
	v_max_f32_dpp v4, v19, v19 quad_perm:[1,0,3,2] row_mask:0xf bank_mask:0xf// 0000000024FC: 160826FA FF00B113
	s_nop 1                                                    // 000000002504: BF800001
	v_max_f32_dpp v4, v4, v4 quad_perm:[2,3,0,1] row_mask:0xf bank_mask:0xf// 000000002508: 160808FA FF004E04
	s_nop 1                                                    // 000000002510: BF800001
	v_max_f32_dpp v4, v4, v4 row_shr:4 row_mask:0xf bank_mask:0xf// 000000002514: 160808FA FF011404
	s_nop 1                                                    // 00000000251C: BF800001
	v_max_f32_dpp v4, v4, v4 row_shr:8 row_mask:0xf bank_mask:0xf// 000000002520: 160808FA FF011804
	s_nop 1                                                    // 000000002528: BF800001
	v_max_f32_dpp v4, v4, v4 row_bcast:15 row_mask:0xf bank_mask:0xf// 00000000252C: 160808FA FF014204
	s_nop 1                                                    // 000000002534: BF800001
	v_max_f32_dpp v4, v4, v4 row_bcast:31 row_mask:0xf bank_mask:0xf// 000000002538: 160808FA FF014304
	s_nop 0                                                    // 000000002540: BF800000
	v_readlane_b32 s20, v4, 63                                 // 000000002544: D2890014 00017F04
	v_mov_b32_e32 v19, s20                                     // 00000000254C: 7E260214
	v_cmp_eq_f32_e64 s[24:25], v19, v11                        // 000000002550: D0420018 00021713
	v_cmp_eq_f32_e64 s[26:27], v19, v12                        // 000000002558: D042001A 00021913
	v_cmp_eq_f32_e64 s[28:29], v19, v13                        // 000000002560: D042001C 00021B13
	v_cmp_eq_f32_e64 s[30:31], v19, v14                        // 000000002568: D042001E 00021D13
	s_ff1_i32_b64 s32, s[24:25]                                // 000000002570: BEA01118
	s_ff1_i32_b64 s33, s[26:27]                                // 000000002574: BEA1111A
	s_ff1_i32_b64 s34, s[28:29]                                // 000000002578: BEA2111C
	s_ff1_i32_b64 s35, s[30:31]                                // 00000000257C: BEA3111E
	v_readlane_b32 s20, v19, 0                                 // 000000002580: D2890014 00010113
	v_writelane_b32 v16, s20, 6                                // 000000002588: D28A0010 00010C14
	s_mov_b32 s22, s32                                         // 000000002590: BE960020
	s_cmp_eq_u32 s32, -1                                       // 000000002594: BF06C120
	s_cselect_b32 s21, 1, 0                                    // 000000002598: 85158081
	s_cbranch_scc0 label_0278                                  // 00000000259C: BF840010
	s_add_u32 s46, s21, s46                                    // 0000000025A0: 802E2E15
	s_mov_b32 s22, s33                                         // 0000000025A4: BE960021
	s_cmp_eq_u32 s33, -1                                       // 0000000025A8: BF06C121
	s_cselect_b32 s21, 1, 0                                    // 0000000025AC: 85158081
	s_cbranch_scc0 label_0278                                  // 0000000025B0: BF84000B
	s_add_u32 s46, s21, s46                                    // 0000000025B4: 802E2E15
	s_mov_b32 s22, s34                                         // 0000000025B8: BE960022
	s_cmp_eq_u32 s34, -1                                       // 0000000025BC: BF06C122
	s_cselect_b32 s21, 1, 0                                    // 0000000025C0: 85158081
	s_cbranch_scc0 label_0278                                  // 0000000025C4: BF840006
	s_add_u32 s46, s21, s46                                    // 0000000025C8: 802E2E15
	s_mov_b32 s22, s35                                         // 0000000025CC: BE960023
	s_cmp_eq_u32 s35, -1                                       // 0000000025D0: BF06C123
	s_cselect_b32 s21, 1, 0                                    // 0000000025D4: 85158081
	s_cbranch_scc0 label_0278                                  // 0000000025D8: BF840001
	s_add_u32 s46, s21, s46                                    // 0000000025DC: 802E2E15

00000000000025e0 <label_0278>:
	s_set_gpr_idx_on s46, gpr_idx(DST)                         // 0000000025E0: BF11082E
	v_writelane_b32 v11, 0, s22                                // 0000000025E4: D28A000B 00002C80
	s_set_gpr_idx_off                                          // 0000000025EC: BF9C0000
	s_mul_i32 s46, 64, s46                                     // 0000000025F0: 922E2EC0
	s_add_u32 s46, s22, s46                                    // 0000000025F4: 802E2E16
	v_writelane_b32 v15, s46, 6                                // 0000000025F8: D28A000F 00010C2E
	v_max_f32_e32 v19, v11, v12                                // 000000002600: 1626190B
	v_max3_f32 v19, v19, v13, v14                              // 000000002604: D1D30013 043A1B13
	s_nop 1                                                    // 00000000260C: BF800001
	v_max_f32_dpp v4, v19, v19 quad_perm:[1,0,3,2] row_mask:0xf bank_mask:0xf// 000000002610: 160826FA FF00B113
	s_nop 1                                                    // 000000002618: BF800001
	v_max_f32_dpp v4, v4, v4 quad_perm:[2,3,0,1] row_mask:0xf bank_mask:0xf// 00000000261C: 160808FA FF004E04
	s_nop 1                                                    // 000000002624: BF800001
	v_max_f32_dpp v4, v4, v4 row_shr:4 row_mask:0xf bank_mask:0xf// 000000002628: 160808FA FF011404
	s_nop 1                                                    // 000000002630: BF800001
	v_max_f32_dpp v4, v4, v4 row_shr:8 row_mask:0xf bank_mask:0xf// 000000002634: 160808FA FF011804
	s_nop 1                                                    // 00000000263C: BF800001
	v_max_f32_dpp v4, v4, v4 row_bcast:15 row_mask:0xf bank_mask:0xf// 000000002640: 160808FA FF014204
	s_nop 1                                                    // 000000002648: BF800001
	v_max_f32_dpp v4, v4, v4 row_bcast:31 row_mask:0xf bank_mask:0xf// 00000000264C: 160808FA FF014304
	s_nop 0                                                    // 000000002654: BF800000
	v_readlane_b32 s20, v4, 63                                 // 000000002658: D2890014 00017F04
	v_mov_b32_e32 v19, s20                                     // 000000002660: 7E260214
	v_cmp_eq_f32_e64 s[24:25], v19, v11                        // 000000002664: D0420018 00021713
	v_cmp_eq_f32_e64 s[26:27], v19, v12                        // 00000000266C: D042001A 00021913
	v_cmp_eq_f32_e64 s[28:29], v19, v13                        // 000000002674: D042001C 00021B13
	v_cmp_eq_f32_e64 s[30:31], v19, v14                        // 00000000267C: D042001E 00021D13
	s_ff1_i32_b64 s32, s[24:25]                                // 000000002684: BEA01118
	s_ff1_i32_b64 s33, s[26:27]                                // 000000002688: BEA1111A
	s_ff1_i32_b64 s34, s[28:29]                                // 00000000268C: BEA2111C
	s_ff1_i32_b64 s35, s[30:31]                                // 000000002690: BEA3111E
	v_readlane_b32 s20, v19, 0                                 // 000000002694: D2890014 00010113
	v_writelane_b32 v16, s20, 7                                // 00000000269C: D28A0010 00010E14
	s_mov_b32 s22, s32                                         // 0000000026A4: BE960020
	s_cmp_eq_u32 s32, -1                                       // 0000000026A8: BF06C120
	s_cselect_b32 s21, 1, 0                                    // 0000000026AC: 85158081
	s_cbranch_scc0 label_02BD                                  // 0000000026B0: BF840010
	s_add_u32 s47, s21, s47                                    // 0000000026B4: 802F2F15
	s_mov_b32 s22, s33                                         // 0000000026B8: BE960021
	s_cmp_eq_u32 s33, -1                                       // 0000000026BC: BF06C121
	s_cselect_b32 s21, 1, 0                                    // 0000000026C0: 85158081
	s_cbranch_scc0 label_02BD                                  // 0000000026C4: BF84000B
	s_add_u32 s47, s21, s47                                    // 0000000026C8: 802F2F15
	s_mov_b32 s22, s34                                         // 0000000026CC: BE960022
	s_cmp_eq_u32 s34, -1                                       // 0000000026D0: BF06C122
	s_cselect_b32 s21, 1, 0                                    // 0000000026D4: 85158081
	s_cbranch_scc0 label_02BD                                  // 0000000026D8: BF840006
	s_add_u32 s47, s21, s47                                    // 0000000026DC: 802F2F15
	s_mov_b32 s22, s35                                         // 0000000026E0: BE960023
	s_cmp_eq_u32 s35, -1                                       // 0000000026E4: BF06C123
	s_cselect_b32 s21, 1, 0                                    // 0000000026E8: 85158081
	s_cbranch_scc0 label_02BD                                  // 0000000026EC: BF840001
	s_add_u32 s47, s21, s47                                    // 0000000026F0: 802F2F15

00000000000026f4 <label_02BD>:
	s_set_gpr_idx_on s47, gpr_idx(DST)                         // 0000000026F4: BF11082F
	v_writelane_b32 v11, 0, s22                                // 0000000026F8: D28A000B 00002C80
	s_set_gpr_idx_off                                          // 000000002700: BF9C0000
	s_mul_i32 s47, 64, s47                                     // 000000002704: 922F2FC0
	s_add_u32 s47, s22, s47                                    // 000000002708: 802F2F16
	v_writelane_b32 v15, s47, 7                                // 00000000270C: D28A000F 00010E2F
	s_bfm_b64 exec, s18, 0                                     // 000000002714: 91FE8012
	buffer_store_dword v15, v9, s[4:7], 0 offen                // 000000002718: E0701000 80010F09
	buffer_store_dword v16, v10, s[8:11], 0 offen              // 000000002720: E0701000 8002100A
	s_branch label_0503                                        // 000000002728: BF820238

000000000000272c <label_02CB>:
	v_max_f32_e32 v19, v11, v12                                // 00000000272C: 1626190B
	v_max3_f32 v19, v19, v13, v14                              // 000000002730: D1D30013 043A1B13
	s_nop 1                                                    // 000000002738: BF800001
	v_max_f32_dpp v4, v19, v19 quad_perm:[1,0,3,2] row_mask:0xf bank_mask:0xf// 00000000273C: 160826FA FF00B113
	s_nop 1                                                    // 000000002744: BF800001
	v_max_f32_dpp v4, v4, v4 quad_perm:[2,3,0,1] row_mask:0xf bank_mask:0xf// 000000002748: 160808FA FF004E04
	s_nop 1                                                    // 000000002750: BF800001
	v_max_f32_dpp v4, v4, v4 row_shr:4 row_mask:0xf bank_mask:0xf// 000000002754: 160808FA FF011404
	s_nop 1                                                    // 00000000275C: BF800001
	v_max_f32_dpp v4, v4, v4 row_shr:8 row_mask:0xf bank_mask:0xf// 000000002760: 160808FA FF011804
	s_nop 1                                                    // 000000002768: BF800001
	v_max_f32_dpp v4, v4, v4 row_bcast:15 row_mask:0xf bank_mask:0xf// 00000000276C: 160808FA FF014204
	s_nop 1                                                    // 000000002774: BF800001
	v_max_f32_dpp v4, v4, v4 row_bcast:31 row_mask:0xf bank_mask:0xf// 000000002778: 160808FA FF014304
	s_nop 0                                                    // 000000002780: BF800000
	v_readlane_b32 s20, v4, 63                                 // 000000002784: D2890014 00017F04
	v_mov_b32_e32 v19, s20                                     // 00000000278C: 7E260214
	v_add_f32_e32 v21, v21, v19                                // 000000002790: 022A2715
	v_cmp_eq_f32_e64 s[24:25], v19, v11                        // 000000002794: D0420018 00021713
	v_cmp_eq_f32_e64 s[26:27], v19, v12                        // 00000000279C: D042001A 00021913
	v_cmp_eq_f32_e64 s[28:29], v19, v13                        // 0000000027A4: D042001C 00021B13
	v_cmp_eq_f32_e64 s[30:31], v19, v14                        // 0000000027AC: D042001E 00021D13
	s_ff1_i32_b64 s32, s[24:25]                                // 0000000027B4: BEA01118
	s_ff1_i32_b64 s33, s[26:27]                                // 0000000027B8: BEA1111A
	s_ff1_i32_b64 s34, s[28:29]                                // 0000000027BC: BEA2111C
	s_ff1_i32_b64 s35, s[30:31]                                // 0000000027C0: BEA3111E
	v_readlane_b32 s20, v19, 0                                 // 0000000027C4: D2890014 00010113
	v_writelane_b32 v16, s20, 0                                // 0000000027CC: D28A0010 00010014
	s_mov_b32 s22, s32                                         // 0000000027D4: BE960020
	s_cmp_eq_u32 s32, -1                                       // 0000000027D8: BF06C120
	s_cselect_b32 s21, 1, 0                                    // 0000000027DC: 85158081
	s_cbranch_scc0 label_0309                                  // 0000000027E0: BF840010
	s_add_u32 s40, s21, s40                                    // 0000000027E4: 80282815
	s_mov_b32 s22, s33                                         // 0000000027E8: BE960021
	s_cmp_eq_u32 s33, -1                                       // 0000000027EC: BF06C121
	s_cselect_b32 s21, 1, 0                                    // 0000000027F0: 85158081
	s_cbranch_scc0 label_0309                                  // 0000000027F4: BF84000B
	s_add_u32 s40, s21, s40                                    // 0000000027F8: 80282815
	s_mov_b32 s22, s34                                         // 0000000027FC: BE960022
	s_cmp_eq_u32 s34, -1                                       // 000000002800: BF06C122
	s_cselect_b32 s21, 1, 0                                    // 000000002804: 85158081
	s_cbranch_scc0 label_0309                                  // 000000002808: BF840006
	s_add_u32 s40, s21, s40                                    // 00000000280C: 80282815
	s_mov_b32 s22, s35                                         // 000000002810: BE960023
	s_cmp_eq_u32 s35, -1                                       // 000000002814: BF06C123
	s_cselect_b32 s21, 1, 0                                    // 000000002818: 85158081
	s_cbranch_scc0 label_0309                                  // 00000000281C: BF840001
	s_add_u32 s40, s21, s40                                    // 000000002820: 80282815

0000000000002824 <label_0309>:
	s_set_gpr_idx_on s40, gpr_idx(DST)                         // 000000002824: BF110828
	v_writelane_b32 v11, 0, s22                                // 000000002828: D28A000B 00002C80
	s_set_gpr_idx_off                                          // 000000002830: BF9C0000
	s_mul_i32 s40, 64, s40                                     // 000000002834: 922828C0
	s_add_u32 s40, s22, s40                                    // 000000002838: 80282816
	v_writelane_b32 v15, s40, 0                                // 00000000283C: D28A000F 00010028
	v_max_f32_e32 v19, v11, v12                                // 000000002844: 1626190B
	v_max3_f32 v19, v19, v13, v14                              // 000000002848: D1D30013 043A1B13
	s_nop 1                                                    // 000000002850: BF800001
	v_max_f32_dpp v4, v19, v19 quad_perm:[1,0,3,2] row_mask:0xf bank_mask:0xf// 000000002854: 160826FA FF00B113
	s_nop 1                                                    // 00000000285C: BF800001
	v_max_f32_dpp v4, v4, v4 quad_perm:[2,3,0,1] row_mask:0xf bank_mask:0xf// 000000002860: 160808FA FF004E04
	s_nop 1                                                    // 000000002868: BF800001
	v_max_f32_dpp v4, v4, v4 row_shr:4 row_mask:0xf bank_mask:0xf// 00000000286C: 160808FA FF011404
	s_nop 1                                                    // 000000002874: BF800001
	v_max_f32_dpp v4, v4, v4 row_shr:8 row_mask:0xf bank_mask:0xf// 000000002878: 160808FA FF011804
	s_nop 1                                                    // 000000002880: BF800001
	v_max_f32_dpp v4, v4, v4 row_bcast:15 row_mask:0xf bank_mask:0xf// 000000002884: 160808FA FF014204
	s_nop 1                                                    // 00000000288C: BF800001
	v_max_f32_dpp v4, v4, v4 row_bcast:31 row_mask:0xf bank_mask:0xf// 000000002890: 160808FA FF014304
	s_nop 0                                                    // 000000002898: BF800000
	v_readlane_b32 s20, v4, 63                                 // 00000000289C: D2890014 00017F04
	v_mov_b32_e32 v19, s20                                     // 0000000028A4: 7E260214
	v_add_f32_e32 v21, v21, v19                                // 0000000028A8: 022A2715
	v_cmp_eq_f32_e64 s[24:25], v19, v11                        // 0000000028AC: D0420018 00021713
	v_cmp_eq_f32_e64 s[26:27], v19, v12                        // 0000000028B4: D042001A 00021913
	v_cmp_eq_f32_e64 s[28:29], v19, v13                        // 0000000028BC: D042001C 00021B13
	v_cmp_eq_f32_e64 s[30:31], v19, v14                        // 0000000028C4: D042001E 00021D13
	s_ff1_i32_b64 s32, s[24:25]                                // 0000000028CC: BEA01118
	s_ff1_i32_b64 s33, s[26:27]                                // 0000000028D0: BEA1111A
	s_ff1_i32_b64 s34, s[28:29]                                // 0000000028D4: BEA2111C
	s_ff1_i32_b64 s35, s[30:31]                                // 0000000028D8: BEA3111E
	v_readlane_b32 s20, v19, 0                                 // 0000000028DC: D2890014 00010113
	v_writelane_b32 v16, s20, 1                                // 0000000028E4: D28A0010 00010214
	s_mov_b32 s22, s32                                         // 0000000028EC: BE960020
	s_cmp_eq_u32 s32, -1                                       // 0000000028F0: BF06C120
	s_cselect_b32 s21, 1, 0                                    // 0000000028F4: 85158081
	s_cbranch_scc0 label_034F                                  // 0000000028F8: BF840010
	s_add_u32 s41, s21, s41                                    // 0000000028FC: 80292915
	s_mov_b32 s22, s33                                         // 000000002900: BE960021
	s_cmp_eq_u32 s33, -1                                       // 000000002904: BF06C121
	s_cselect_b32 s21, 1, 0                                    // 000000002908: 85158081
	s_cbranch_scc0 label_034F                                  // 00000000290C: BF84000B
	s_add_u32 s41, s21, s41                                    // 000000002910: 80292915
	s_mov_b32 s22, s34                                         // 000000002914: BE960022
	s_cmp_eq_u32 s34, -1                                       // 000000002918: BF06C122
	s_cselect_b32 s21, 1, 0                                    // 00000000291C: 85158081
	s_cbranch_scc0 label_034F                                  // 000000002920: BF840006
	s_add_u32 s41, s21, s41                                    // 000000002924: 80292915
	s_mov_b32 s22, s35                                         // 000000002928: BE960023
	s_cmp_eq_u32 s35, -1                                       // 00000000292C: BF06C123
	s_cselect_b32 s21, 1, 0                                    // 000000002930: 85158081
	s_cbranch_scc0 label_034F                                  // 000000002934: BF840001
	s_add_u32 s41, s21, s41                                    // 000000002938: 80292915

000000000000293c <label_034F>:
	s_set_gpr_idx_on s41, gpr_idx(DST)                         // 00000000293C: BF110829
	v_writelane_b32 v11, 0, s22                                // 000000002940: D28A000B 00002C80
	s_set_gpr_idx_off                                          // 000000002948: BF9C0000
	s_mul_i32 s41, 64, s41                                     // 00000000294C: 922929C0
	s_add_u32 s41, s22, s41                                    // 000000002950: 80292916
	v_writelane_b32 v15, s41, 1                                // 000000002954: D28A000F 00010229
	v_max_f32_e32 v19, v11, v12                                // 00000000295C: 1626190B
	v_max3_f32 v19, v19, v13, v14                              // 000000002960: D1D30013 043A1B13
	s_nop 1                                                    // 000000002968: BF800001
	v_max_f32_dpp v4, v19, v19 quad_perm:[1,0,3,2] row_mask:0xf bank_mask:0xf// 00000000296C: 160826FA FF00B113
	s_nop 1                                                    // 000000002974: BF800001
	v_max_f32_dpp v4, v4, v4 quad_perm:[2,3,0,1] row_mask:0xf bank_mask:0xf// 000000002978: 160808FA FF004E04
	s_nop 1                                                    // 000000002980: BF800001
	v_max_f32_dpp v4, v4, v4 row_shr:4 row_mask:0xf bank_mask:0xf// 000000002984: 160808FA FF011404
	s_nop 1                                                    // 00000000298C: BF800001
	v_max_f32_dpp v4, v4, v4 row_shr:8 row_mask:0xf bank_mask:0xf// 000000002990: 160808FA FF011804
	s_nop 1                                                    // 000000002998: BF800001
	v_max_f32_dpp v4, v4, v4 row_bcast:15 row_mask:0xf bank_mask:0xf// 00000000299C: 160808FA FF014204
	s_nop 1                                                    // 0000000029A4: BF800001
	v_max_f32_dpp v4, v4, v4 row_bcast:31 row_mask:0xf bank_mask:0xf// 0000000029A8: 160808FA FF014304
	s_nop 0                                                    // 0000000029B0: BF800000
	v_readlane_b32 s20, v4, 63                                 // 0000000029B4: D2890014 00017F04
	v_mov_b32_e32 v19, s20                                     // 0000000029BC: 7E260214
	v_add_f32_e32 v21, v21, v19                                // 0000000029C0: 022A2715
	v_cmp_eq_f32_e64 s[24:25], v19, v11                        // 0000000029C4: D0420018 00021713
	v_cmp_eq_f32_e64 s[26:27], v19, v12                        // 0000000029CC: D042001A 00021913
	v_cmp_eq_f32_e64 s[28:29], v19, v13                        // 0000000029D4: D042001C 00021B13
	v_cmp_eq_f32_e64 s[30:31], v19, v14                        // 0000000029DC: D042001E 00021D13
	s_ff1_i32_b64 s32, s[24:25]                                // 0000000029E4: BEA01118
	s_ff1_i32_b64 s33, s[26:27]                                // 0000000029E8: BEA1111A
	s_ff1_i32_b64 s34, s[28:29]                                // 0000000029EC: BEA2111C
	s_ff1_i32_b64 s35, s[30:31]                                // 0000000029F0: BEA3111E
	v_readlane_b32 s20, v19, 0                                 // 0000000029F4: D2890014 00010113
	v_writelane_b32 v16, s20, 2                                // 0000000029FC: D28A0010 00010414
	s_mov_b32 s22, s32                                         // 000000002A04: BE960020
	s_cmp_eq_u32 s32, -1                                       // 000000002A08: BF06C120
	s_cselect_b32 s21, 1, 0                                    // 000000002A0C: 85158081
	s_cbranch_scc0 label_0395                                  // 000000002A10: BF840010
	s_add_u32 s42, s21, s42                                    // 000000002A14: 802A2A15
	s_mov_b32 s22, s33                                         // 000000002A18: BE960021
	s_cmp_eq_u32 s33, -1                                       // 000000002A1C: BF06C121
	s_cselect_b32 s21, 1, 0                                    // 000000002A20: 85158081
	s_cbranch_scc0 label_0395                                  // 000000002A24: BF84000B
	s_add_u32 s42, s21, s42                                    // 000000002A28: 802A2A15
	s_mov_b32 s22, s34                                         // 000000002A2C: BE960022
	s_cmp_eq_u32 s34, -1                                       // 000000002A30: BF06C122
	s_cselect_b32 s21, 1, 0                                    // 000000002A34: 85158081
	s_cbranch_scc0 label_0395                                  // 000000002A38: BF840006
	s_add_u32 s42, s21, s42                                    // 000000002A3C: 802A2A15
	s_mov_b32 s22, s35                                         // 000000002A40: BE960023
	s_cmp_eq_u32 s35, -1                                       // 000000002A44: BF06C123
	s_cselect_b32 s21, 1, 0                                    // 000000002A48: 85158081
	s_cbranch_scc0 label_0395                                  // 000000002A4C: BF840001
	s_add_u32 s42, s21, s42                                    // 000000002A50: 802A2A15

0000000000002a54 <label_0395>:
	s_set_gpr_idx_on s42, gpr_idx(DST)                         // 000000002A54: BF11082A
	v_writelane_b32 v11, 0, s22                                // 000000002A58: D28A000B 00002C80
	s_set_gpr_idx_off                                          // 000000002A60: BF9C0000
	s_mul_i32 s42, 64, s42                                     // 000000002A64: 922A2AC0
	s_add_u32 s42, s22, s42                                    // 000000002A68: 802A2A16
	v_writelane_b32 v15, s42, 2                                // 000000002A6C: D28A000F 0001042A
	v_max_f32_e32 v19, v11, v12                                // 000000002A74: 1626190B
	v_max3_f32 v19, v19, v13, v14                              // 000000002A78: D1D30013 043A1B13
	s_nop 1                                                    // 000000002A80: BF800001
	v_max_f32_dpp v4, v19, v19 quad_perm:[1,0,3,2] row_mask:0xf bank_mask:0xf// 000000002A84: 160826FA FF00B113
	s_nop 1                                                    // 000000002A8C: BF800001
	v_max_f32_dpp v4, v4, v4 quad_perm:[2,3,0,1] row_mask:0xf bank_mask:0xf// 000000002A90: 160808FA FF004E04
	s_nop 1                                                    // 000000002A98: BF800001
	v_max_f32_dpp v4, v4, v4 row_shr:4 row_mask:0xf bank_mask:0xf// 000000002A9C: 160808FA FF011404
	s_nop 1                                                    // 000000002AA4: BF800001
	v_max_f32_dpp v4, v4, v4 row_shr:8 row_mask:0xf bank_mask:0xf// 000000002AA8: 160808FA FF011804
	s_nop 1                                                    // 000000002AB0: BF800001
	v_max_f32_dpp v4, v4, v4 row_bcast:15 row_mask:0xf bank_mask:0xf// 000000002AB4: 160808FA FF014204
	s_nop 1                                                    // 000000002ABC: BF800001
	v_max_f32_dpp v4, v4, v4 row_bcast:31 row_mask:0xf bank_mask:0xf// 000000002AC0: 160808FA FF014304
	s_nop 0                                                    // 000000002AC8: BF800000
	v_readlane_b32 s20, v4, 63                                 // 000000002ACC: D2890014 00017F04
	v_mov_b32_e32 v19, s20                                     // 000000002AD4: 7E260214
	v_add_f32_e32 v21, v21, v19                                // 000000002AD8: 022A2715
	v_cmp_eq_f32_e64 s[24:25], v19, v11                        // 000000002ADC: D0420018 00021713
	v_cmp_eq_f32_e64 s[26:27], v19, v12                        // 000000002AE4: D042001A 00021913
	v_cmp_eq_f32_e64 s[28:29], v19, v13                        // 000000002AEC: D042001C 00021B13
	v_cmp_eq_f32_e64 s[30:31], v19, v14                        // 000000002AF4: D042001E 00021D13
	s_ff1_i32_b64 s32, s[24:25]                                // 000000002AFC: BEA01118
	s_ff1_i32_b64 s33, s[26:27]                                // 000000002B00: BEA1111A
	s_ff1_i32_b64 s34, s[28:29]                                // 000000002B04: BEA2111C
	s_ff1_i32_b64 s35, s[30:31]                                // 000000002B08: BEA3111E
	v_readlane_b32 s20, v19, 0                                 // 000000002B0C: D2890014 00010113
	v_writelane_b32 v16, s20, 3                                // 000000002B14: D28A0010 00010614
	s_mov_b32 s22, s32                                         // 000000002B1C: BE960020
	s_cmp_eq_u32 s32, -1                                       // 000000002B20: BF06C120
	s_cselect_b32 s21, 1, 0                                    // 000000002B24: 85158081
	s_cbranch_scc0 label_03DB                                  // 000000002B28: BF840010
	s_add_u32 s43, s21, s43                                    // 000000002B2C: 802B2B15
	s_mov_b32 s22, s33                                         // 000000002B30: BE960021
	s_cmp_eq_u32 s33, -1                                       // 000000002B34: BF06C121
	s_cselect_b32 s21, 1, 0                                    // 000000002B38: 85158081
	s_cbranch_scc0 label_03DB                                  // 000000002B3C: BF84000B
	s_add_u32 s43, s21, s43                                    // 000000002B40: 802B2B15
	s_mov_b32 s22, s34                                         // 000000002B44: BE960022
	s_cmp_eq_u32 s34, -1                                       // 000000002B48: BF06C122
	s_cselect_b32 s21, 1, 0                                    // 000000002B4C: 85158081
	s_cbranch_scc0 label_03DB                                  // 000000002B50: BF840006
	s_add_u32 s43, s21, s43                                    // 000000002B54: 802B2B15
	s_mov_b32 s22, s35                                         // 000000002B58: BE960023
	s_cmp_eq_u32 s35, -1                                       // 000000002B5C: BF06C123
	s_cselect_b32 s21, 1, 0                                    // 000000002B60: 85158081
	s_cbranch_scc0 label_03DB                                  // 000000002B64: BF840001
	s_add_u32 s43, s21, s43                                    // 000000002B68: 802B2B15

0000000000002b6c <label_03DB>:
	s_set_gpr_idx_on s43, gpr_idx(DST)                         // 000000002B6C: BF11082B
	v_writelane_b32 v11, 0, s22                                // 000000002B70: D28A000B 00002C80
	s_set_gpr_idx_off                                          // 000000002B78: BF9C0000
	s_mul_i32 s43, 64, s43                                     // 000000002B7C: 922B2BC0
	s_add_u32 s43, s22, s43                                    // 000000002B80: 802B2B16
	v_writelane_b32 v15, s43, 3                                // 000000002B84: D28A000F 0001062B
	v_max_f32_e32 v19, v11, v12                                // 000000002B8C: 1626190B
	v_max3_f32 v19, v19, v13, v14                              // 000000002B90: D1D30013 043A1B13
	s_nop 1                                                    // 000000002B98: BF800001
	v_max_f32_dpp v4, v19, v19 quad_perm:[1,0,3,2] row_mask:0xf bank_mask:0xf// 000000002B9C: 160826FA FF00B113
	s_nop 1                                                    // 000000002BA4: BF800001
	v_max_f32_dpp v4, v4, v4 quad_perm:[2,3,0,1] row_mask:0xf bank_mask:0xf// 000000002BA8: 160808FA FF004E04
	s_nop 1                                                    // 000000002BB0: BF800001
	v_max_f32_dpp v4, v4, v4 row_shr:4 row_mask:0xf bank_mask:0xf// 000000002BB4: 160808FA FF011404
	s_nop 1                                                    // 000000002BBC: BF800001
	v_max_f32_dpp v4, v4, v4 row_shr:8 row_mask:0xf bank_mask:0xf// 000000002BC0: 160808FA FF011804
	s_nop 1                                                    // 000000002BC8: BF800001
	v_max_f32_dpp v4, v4, v4 row_bcast:15 row_mask:0xf bank_mask:0xf// 000000002BCC: 160808FA FF014204
	s_nop 1                                                    // 000000002BD4: BF800001
	v_max_f32_dpp v4, v4, v4 row_bcast:31 row_mask:0xf bank_mask:0xf// 000000002BD8: 160808FA FF014304
	s_nop 0                                                    // 000000002BE0: BF800000
	v_readlane_b32 s20, v4, 63                                 // 000000002BE4: D2890014 00017F04
	v_mov_b32_e32 v19, s20                                     // 000000002BEC: 7E260214
	v_add_f32_e32 v21, v21, v19                                // 000000002BF0: 022A2715
	v_cmp_eq_f32_e64 s[24:25], v19, v11                        // 000000002BF4: D0420018 00021713
	v_cmp_eq_f32_e64 s[26:27], v19, v12                        // 000000002BFC: D042001A 00021913
	v_cmp_eq_f32_e64 s[28:29], v19, v13                        // 000000002C04: D042001C 00021B13
	v_cmp_eq_f32_e64 s[30:31], v19, v14                        // 000000002C0C: D042001E 00021D13
	s_ff1_i32_b64 s32, s[24:25]                                // 000000002C14: BEA01118
	s_ff1_i32_b64 s33, s[26:27]                                // 000000002C18: BEA1111A
	s_ff1_i32_b64 s34, s[28:29]                                // 000000002C1C: BEA2111C
	s_ff1_i32_b64 s35, s[30:31]                                // 000000002C20: BEA3111E
	v_readlane_b32 s20, v19, 0                                 // 000000002C24: D2890014 00010113
	v_writelane_b32 v16, s20, 4                                // 000000002C2C: D28A0010 00010814
	s_mov_b32 s22, s32                                         // 000000002C34: BE960020
	s_cmp_eq_u32 s32, -1                                       // 000000002C38: BF06C120
	s_cselect_b32 s21, 1, 0                                    // 000000002C3C: 85158081
	s_cbranch_scc0 label_0421                                  // 000000002C40: BF840010
	s_add_u32 s44, s21, s44                                    // 000000002C44: 802C2C15
	s_mov_b32 s22, s33                                         // 000000002C48: BE960021
	s_cmp_eq_u32 s33, -1                                       // 000000002C4C: BF06C121
	s_cselect_b32 s21, 1, 0                                    // 000000002C50: 85158081
	s_cbranch_scc0 label_0421                                  // 000000002C54: BF84000B
	s_add_u32 s44, s21, s44                                    // 000000002C58: 802C2C15
	s_mov_b32 s22, s34                                         // 000000002C5C: BE960022
	s_cmp_eq_u32 s34, -1                                       // 000000002C60: BF06C122
	s_cselect_b32 s21, 1, 0                                    // 000000002C64: 85158081
	s_cbranch_scc0 label_0421                                  // 000000002C68: BF840006
	s_add_u32 s44, s21, s44                                    // 000000002C6C: 802C2C15
	s_mov_b32 s22, s35                                         // 000000002C70: BE960023
	s_cmp_eq_u32 s35, -1                                       // 000000002C74: BF06C123
	s_cselect_b32 s21, 1, 0                                    // 000000002C78: 85158081
	s_cbranch_scc0 label_0421                                  // 000000002C7C: BF840001
	s_add_u32 s44, s21, s44                                    // 000000002C80: 802C2C15

0000000000002c84 <label_0421>:
	s_set_gpr_idx_on s44, gpr_idx(DST)                         // 000000002C84: BF11082C
	v_writelane_b32 v11, 0, s22                                // 000000002C88: D28A000B 00002C80
	s_set_gpr_idx_off                                          // 000000002C90: BF9C0000
	s_mul_i32 s44, 64, s44                                     // 000000002C94: 922C2CC0
	s_add_u32 s44, s22, s44                                    // 000000002C98: 802C2C16
	v_writelane_b32 v15, s44, 4                                // 000000002C9C: D28A000F 0001082C
	v_max_f32_e32 v19, v11, v12                                // 000000002CA4: 1626190B
	v_max3_f32 v19, v19, v13, v14                              // 000000002CA8: D1D30013 043A1B13
	s_nop 1                                                    // 000000002CB0: BF800001
	v_max_f32_dpp v4, v19, v19 quad_perm:[1,0,3,2] row_mask:0xf bank_mask:0xf// 000000002CB4: 160826FA FF00B113
	s_nop 1                                                    // 000000002CBC: BF800001
	v_max_f32_dpp v4, v4, v4 quad_perm:[2,3,0,1] row_mask:0xf bank_mask:0xf// 000000002CC0: 160808FA FF004E04
	s_nop 1                                                    // 000000002CC8: BF800001
	v_max_f32_dpp v4, v4, v4 row_shr:4 row_mask:0xf bank_mask:0xf// 000000002CCC: 160808FA FF011404
	s_nop 1                                                    // 000000002CD4: BF800001
	v_max_f32_dpp v4, v4, v4 row_shr:8 row_mask:0xf bank_mask:0xf// 000000002CD8: 160808FA FF011804
	s_nop 1                                                    // 000000002CE0: BF800001
	v_max_f32_dpp v4, v4, v4 row_bcast:15 row_mask:0xf bank_mask:0xf// 000000002CE4: 160808FA FF014204
	s_nop 1                                                    // 000000002CEC: BF800001
	v_max_f32_dpp v4, v4, v4 row_bcast:31 row_mask:0xf bank_mask:0xf// 000000002CF0: 160808FA FF014304
	s_nop 0                                                    // 000000002CF8: BF800000
	v_readlane_b32 s20, v4, 63                                 // 000000002CFC: D2890014 00017F04
	v_mov_b32_e32 v19, s20                                     // 000000002D04: 7E260214
	v_add_f32_e32 v21, v21, v19                                // 000000002D08: 022A2715
	v_cmp_eq_f32_e64 s[24:25], v19, v11                        // 000000002D0C: D0420018 00021713
	v_cmp_eq_f32_e64 s[26:27], v19, v12                        // 000000002D14: D042001A 00021913
	v_cmp_eq_f32_e64 s[28:29], v19, v13                        // 000000002D1C: D042001C 00021B13
	v_cmp_eq_f32_e64 s[30:31], v19, v14                        // 000000002D24: D042001E 00021D13
	s_ff1_i32_b64 s32, s[24:25]                                // 000000002D2C: BEA01118
	s_ff1_i32_b64 s33, s[26:27]                                // 000000002D30: BEA1111A
	s_ff1_i32_b64 s34, s[28:29]                                // 000000002D34: BEA2111C
	s_ff1_i32_b64 s35, s[30:31]                                // 000000002D38: BEA3111E
	v_readlane_b32 s20, v19, 0                                 // 000000002D3C: D2890014 00010113
	v_writelane_b32 v16, s20, 5                                // 000000002D44: D28A0010 00010A14
	s_mov_b32 s22, s32                                         // 000000002D4C: BE960020
	s_cmp_eq_u32 s32, -1                                       // 000000002D50: BF06C120
	s_cselect_b32 s21, 1, 0                                    // 000000002D54: 85158081
	s_cbranch_scc0 label_0467                                  // 000000002D58: BF840010
	s_add_u32 s45, s21, s45                                    // 000000002D5C: 802D2D15
	s_mov_b32 s22, s33                                         // 000000002D60: BE960021
	s_cmp_eq_u32 s33, -1                                       // 000000002D64: BF06C121
	s_cselect_b32 s21, 1, 0                                    // 000000002D68: 85158081
	s_cbranch_scc0 label_0467                                  // 000000002D6C: BF84000B
	s_add_u32 s45, s21, s45                                    // 000000002D70: 802D2D15
	s_mov_b32 s22, s34                                         // 000000002D74: BE960022
	s_cmp_eq_u32 s34, -1                                       // 000000002D78: BF06C122
	s_cselect_b32 s21, 1, 0                                    // 000000002D7C: 85158081
	s_cbranch_scc0 label_0467                                  // 000000002D80: BF840006
	s_add_u32 s45, s21, s45                                    // 000000002D84: 802D2D15
	s_mov_b32 s22, s35                                         // 000000002D88: BE960023
	s_cmp_eq_u32 s35, -1                                       // 000000002D8C: BF06C123
	s_cselect_b32 s21, 1, 0                                    // 000000002D90: 85158081
	s_cbranch_scc0 label_0467                                  // 000000002D94: BF840001
	s_add_u32 s45, s21, s45                                    // 000000002D98: 802D2D15

0000000000002d9c <label_0467>:
	s_set_gpr_idx_on s45, gpr_idx(DST)                         // 000000002D9C: BF11082D
	v_writelane_b32 v11, 0, s22                                // 000000002DA0: D28A000B 00002C80
	s_set_gpr_idx_off                                          // 000000002DA8: BF9C0000
	s_mul_i32 s45, 64, s45                                     // 000000002DAC: 922D2DC0
	s_add_u32 s45, s22, s45                                    // 000000002DB0: 802D2D16
	v_writelane_b32 v15, s45, 5                                // 000000002DB4: D28A000F 00010A2D
	v_max_f32_e32 v19, v11, v12                                // 000000002DBC: 1626190B
	v_max3_f32 v19, v19, v13, v14                              // 000000002DC0: D1D30013 043A1B13
	s_nop 1                                                    // 000000002DC8: BF800001
	v_max_f32_dpp v4, v19, v19 quad_perm:[1,0,3,2] row_mask:0xf bank_mask:0xf// 000000002DCC: 160826FA FF00B113
	s_nop 1                                                    // 000000002DD4: BF800001
	v_max_f32_dpp v4, v4, v4 quad_perm:[2,3,0,1] row_mask:0xf bank_mask:0xf// 000000002DD8: 160808FA FF004E04
	s_nop 1                                                    // 000000002DE0: BF800001
	v_max_f32_dpp v4, v4, v4 row_shr:4 row_mask:0xf bank_mask:0xf// 000000002DE4: 160808FA FF011404
	s_nop 1                                                    // 000000002DEC: BF800001
	v_max_f32_dpp v4, v4, v4 row_shr:8 row_mask:0xf bank_mask:0xf// 000000002DF0: 160808FA FF011804
	s_nop 1                                                    // 000000002DF8: BF800001
	v_max_f32_dpp v4, v4, v4 row_bcast:15 row_mask:0xf bank_mask:0xf// 000000002DFC: 160808FA FF014204
	s_nop 1                                                    // 000000002E04: BF800001
	v_max_f32_dpp v4, v4, v4 row_bcast:31 row_mask:0xf bank_mask:0xf// 000000002E08: 160808FA FF014304
	s_nop 0                                                    // 000000002E10: BF800000
	v_readlane_b32 s20, v4, 63                                 // 000000002E14: D2890014 00017F04
	v_mov_b32_e32 v19, s20                                     // 000000002E1C: 7E260214
	v_add_f32_e32 v21, v21, v19                                // 000000002E20: 022A2715
	v_cmp_eq_f32_e64 s[24:25], v19, v11                        // 000000002E24: D0420018 00021713
	v_cmp_eq_f32_e64 s[26:27], v19, v12                        // 000000002E2C: D042001A 00021913
	v_cmp_eq_f32_e64 s[28:29], v19, v13                        // 000000002E34: D042001C 00021B13
	v_cmp_eq_f32_e64 s[30:31], v19, v14                        // 000000002E3C: D042001E 00021D13
	s_ff1_i32_b64 s32, s[24:25]                                // 000000002E44: BEA01118
	s_ff1_i32_b64 s33, s[26:27]                                // 000000002E48: BEA1111A
	s_ff1_i32_b64 s34, s[28:29]                                // 000000002E4C: BEA2111C
	s_ff1_i32_b64 s35, s[30:31]                                // 000000002E50: BEA3111E
	v_readlane_b32 s20, v19, 0                                 // 000000002E54: D2890014 00010113
	v_writelane_b32 v16, s20, 6                                // 000000002E5C: D28A0010 00010C14
	s_mov_b32 s22, s32                                         // 000000002E64: BE960020
	s_cmp_eq_u32 s32, -1                                       // 000000002E68: BF06C120
	s_cselect_b32 s21, 1, 0                                    // 000000002E6C: 85158081
	s_cbranch_scc0 label_04AD                                  // 000000002E70: BF840010
	s_add_u32 s46, s21, s46                                    // 000000002E74: 802E2E15
	s_mov_b32 s22, s33                                         // 000000002E78: BE960021
	s_cmp_eq_u32 s33, -1                                       // 000000002E7C: BF06C121
	s_cselect_b32 s21, 1, 0                                    // 000000002E80: 85158081
	s_cbranch_scc0 label_04AD                                  // 000000002E84: BF84000B
	s_add_u32 s46, s21, s46                                    // 000000002E88: 802E2E15
	s_mov_b32 s22, s34                                         // 000000002E8C: BE960022
	s_cmp_eq_u32 s34, -1                                       // 000000002E90: BF06C122
	s_cselect_b32 s21, 1, 0                                    // 000000002E94: 85158081
	s_cbranch_scc0 label_04AD                                  // 000000002E98: BF840006
	s_add_u32 s46, s21, s46                                    // 000000002E9C: 802E2E15
	s_mov_b32 s22, s35                                         // 000000002EA0: BE960023
	s_cmp_eq_u32 s35, -1                                       // 000000002EA4: BF06C123
	s_cselect_b32 s21, 1, 0                                    // 000000002EA8: 85158081
	s_cbranch_scc0 label_04AD                                  // 000000002EAC: BF840001
	s_add_u32 s46, s21, s46                                    // 000000002EB0: 802E2E15

0000000000002eb4 <label_04AD>:
	s_set_gpr_idx_on s46, gpr_idx(DST)                         // 000000002EB4: BF11082E
	v_writelane_b32 v11, 0, s22                                // 000000002EB8: D28A000B 00002C80
	s_set_gpr_idx_off                                          // 000000002EC0: BF9C0000
	s_mul_i32 s46, 64, s46                                     // 000000002EC4: 922E2EC0
	s_add_u32 s46, s22, s46                                    // 000000002EC8: 802E2E16
	v_writelane_b32 v15, s46, 6                                // 000000002ECC: D28A000F 00010C2E
	v_max_f32_e32 v19, v11, v12                                // 000000002ED4: 1626190B
	v_max3_f32 v19, v19, v13, v14                              // 000000002ED8: D1D30013 043A1B13
	s_nop 1                                                    // 000000002EE0: BF800001
	v_max_f32_dpp v4, v19, v19 quad_perm:[1,0,3,2] row_mask:0xf bank_mask:0xf// 000000002EE4: 160826FA FF00B113
	s_nop 1                                                    // 000000002EEC: BF800001
	v_max_f32_dpp v4, v4, v4 quad_perm:[2,3,0,1] row_mask:0xf bank_mask:0xf// 000000002EF0: 160808FA FF004E04
	s_nop 1                                                    // 000000002EF8: BF800001
	v_max_f32_dpp v4, v4, v4 row_shr:4 row_mask:0xf bank_mask:0xf// 000000002EFC: 160808FA FF011404
	s_nop 1                                                    // 000000002F04: BF800001
	v_max_f32_dpp v4, v4, v4 row_shr:8 row_mask:0xf bank_mask:0xf// 000000002F08: 160808FA FF011804
	s_nop 1                                                    // 000000002F10: BF800001
	v_max_f32_dpp v4, v4, v4 row_bcast:15 row_mask:0xf bank_mask:0xf// 000000002F14: 160808FA FF014204
	s_nop 1                                                    // 000000002F1C: BF800001
	v_max_f32_dpp v4, v4, v4 row_bcast:31 row_mask:0xf bank_mask:0xf// 000000002F20: 160808FA FF014304
	s_nop 0                                                    // 000000002F28: BF800000
	v_readlane_b32 s20, v4, 63                                 // 000000002F2C: D2890014 00017F04
	v_mov_b32_e32 v19, s20                                     // 000000002F34: 7E260214
	v_add_f32_e32 v21, v21, v19                                // 000000002F38: 022A2715
	v_cmp_eq_f32_e64 s[24:25], v19, v11                        // 000000002F3C: D0420018 00021713
	v_cmp_eq_f32_e64 s[26:27], v19, v12                        // 000000002F44: D042001A 00021913
	v_cmp_eq_f32_e64 s[28:29], v19, v13                        // 000000002F4C: D042001C 00021B13
	v_cmp_eq_f32_e64 s[30:31], v19, v14                        // 000000002F54: D042001E 00021D13
	s_ff1_i32_b64 s32, s[24:25]                                // 000000002F5C: BEA01118
	s_ff1_i32_b64 s33, s[26:27]                                // 000000002F60: BEA1111A
	s_ff1_i32_b64 s34, s[28:29]                                // 000000002F64: BEA2111C
	s_ff1_i32_b64 s35, s[30:31]                                // 000000002F68: BEA3111E
	v_readlane_b32 s20, v19, 0                                 // 000000002F6C: D2890014 00010113
	v_writelane_b32 v16, s20, 7                                // 000000002F74: D28A0010 00010E14
	s_mov_b32 s22, s32                                         // 000000002F7C: BE960020
	s_cmp_eq_u32 s32, -1                                       // 000000002F80: BF06C120
	s_cselect_b32 s21, 1, 0                                    // 000000002F84: 85158081
	s_cbranch_scc0 label_04F3                                  // 000000002F88: BF840010
	s_add_u32 s47, s21, s47                                    // 000000002F8C: 802F2F15
	s_mov_b32 s22, s33                                         // 000000002F90: BE960021
	s_cmp_eq_u32 s33, -1                                       // 000000002F94: BF06C121
	s_cselect_b32 s21, 1, 0                                    // 000000002F98: 85158081
	s_cbranch_scc0 label_04F3                                  // 000000002F9C: BF84000B
	s_add_u32 s47, s21, s47                                    // 000000002FA0: 802F2F15
	s_mov_b32 s22, s34                                         // 000000002FA4: BE960022
	s_cmp_eq_u32 s34, -1                                       // 000000002FA8: BF06C122
	s_cselect_b32 s21, 1, 0                                    // 000000002FAC: 85158081
	s_cbranch_scc0 label_04F3                                  // 000000002FB0: BF840006
	s_add_u32 s47, s21, s47                                    // 000000002FB4: 802F2F15
	s_mov_b32 s22, s35                                         // 000000002FB8: BE960023
	s_cmp_eq_u32 s35, -1                                       // 000000002FBC: BF06C123
	s_cselect_b32 s21, 1, 0                                    // 000000002FC0: 85158081
	s_cbranch_scc0 label_04F3                                  // 000000002FC4: BF840001
	s_add_u32 s47, s21, s47                                    // 000000002FC8: 802F2F15

0000000000002fcc <label_04F3>:
	s_set_gpr_idx_on s47, gpr_idx(DST)                         // 000000002FCC: BF11082F
	v_writelane_b32 v11, 0, s22                                // 000000002FD0: D28A000B 00002C80
	s_set_gpr_idx_off                                          // 000000002FD8: BF9C0000
	s_mul_i32 s47, 64, s47                                     // 000000002FDC: 922F2FC0
	s_add_u32 s47, s22, s47                                    // 000000002FE0: 802F2F16
	v_writelane_b32 v15, s47, 7                                // 000000002FE4: D28A000F 00010E2F
	s_bfm_b64 exec, s18, 0                                     // 000000002FEC: 91FE8012
	buffer_store_dword v15, v9, s[4:7], 0 offen                // 000000002FF0: E0701000 80010F09
	v_rcp_f32_e32 v21, v21                                     // 000000002FF8: 7E2A4515
	s_nop 0                                                    // 000000002FFC: BF800000
	v_mul_f32_e32 v16, v16, v21                                // 000000003000: 0A202B10
	buffer_store_dword v16, v10, s[8:11], 0 offen              // 000000003004: E0701000 8002100A

000000000000300c <label_0503>:
	s_waitcnt vmcnt(0) expcnt(0) lgkmcnt(0)                    // 00000000300C: BF8C0000
	s_endpgm                                                   // 000000003010: BF810000
